;; amdgpu-corpus repo=ROCm/rocFFT kind=compiled arch=gfx1030 opt=O3
	.text
	.amdgcn_target "amdgcn-amd-amdhsa--gfx1030"
	.amdhsa_code_object_version 6
	.protected	fft_rtc_fwd_len1274_factors_2_13_7_7_wgs_182_tpt_182_halfLds_sp_op_CI_CI_sbrr_dirReg ; -- Begin function fft_rtc_fwd_len1274_factors_2_13_7_7_wgs_182_tpt_182_halfLds_sp_op_CI_CI_sbrr_dirReg
	.globl	fft_rtc_fwd_len1274_factors_2_13_7_7_wgs_182_tpt_182_halfLds_sp_op_CI_CI_sbrr_dirReg
	.p2align	8
	.type	fft_rtc_fwd_len1274_factors_2_13_7_7_wgs_182_tpt_182_halfLds_sp_op_CI_CI_sbrr_dirReg,@function
fft_rtc_fwd_len1274_factors_2_13_7_7_wgs_182_tpt_182_halfLds_sp_op_CI_CI_sbrr_dirReg: ; @fft_rtc_fwd_len1274_factors_2_13_7_7_wgs_182_tpt_182_halfLds_sp_op_CI_CI_sbrr_dirReg
; %bb.0:
	s_clause 0x2
	s_load_dwordx4 s[16:19], s[4:5], 0x18
	s_load_dwordx4 s[12:15], s[4:5], 0x0
	;; [unrolled: 1-line block ×3, first 2 shown]
	v_mul_u32_u24_e32 v1, 0x169, v0
	v_mov_b32_e32 v7, 0
	v_mov_b32_e32 v5, 0
	;; [unrolled: 1-line block ×3, first 2 shown]
	s_waitcnt lgkmcnt(0)
	s_load_dwordx2 s[20:21], s[16:17], 0x0
	s_load_dwordx2 s[2:3], s[18:19], 0x0
	v_cmp_lt_u64_e64 s0, s[14:15], 2
	v_add_nc_u32_sdwa v9, s6, v1 dst_sel:DWORD dst_unused:UNUSED_PAD src0_sel:DWORD src1_sel:WORD_1
	v_mov_b32_e32 v10, v7
	s_and_b32 vcc_lo, exec_lo, s0
	s_cbranch_vccnz .LBB0_8
; %bb.1:
	s_load_dwordx2 s[0:1], s[4:5], 0x10
	v_mov_b32_e32 v5, 0
	v_mov_b32_e32 v6, 0
	s_add_u32 s6, s18, 8
	s_addc_u32 s7, s19, 0
	v_mov_b32_e32 v1, v5
	s_add_u32 s22, s16, 8
	v_mov_b32_e32 v2, v6
	s_addc_u32 s23, s17, 0
	s_mov_b64 s[26:27], 1
	s_waitcnt lgkmcnt(0)
	s_add_u32 s24, s0, 8
	s_addc_u32 s25, s1, 0
.LBB0_2:                                ; =>This Inner Loop Header: Depth=1
	s_load_dwordx2 s[28:29], s[24:25], 0x0
                                        ; implicit-def: $vgpr3_vgpr4
	s_mov_b32 s0, exec_lo
	s_waitcnt lgkmcnt(0)
	v_or_b32_e32 v8, s29, v10
	v_cmpx_ne_u64_e32 0, v[7:8]
	s_xor_b32 s1, exec_lo, s0
	s_cbranch_execz .LBB0_4
; %bb.3:                                ;   in Loop: Header=BB0_2 Depth=1
	v_cvt_f32_u32_e32 v3, s28
	v_cvt_f32_u32_e32 v4, s29
	s_sub_u32 s0, 0, s28
	s_subb_u32 s30, 0, s29
	v_fmac_f32_e32 v3, 0x4f800000, v4
	v_rcp_f32_e32 v3, v3
	v_mul_f32_e32 v3, 0x5f7ffffc, v3
	v_mul_f32_e32 v4, 0x2f800000, v3
	v_trunc_f32_e32 v4, v4
	v_fmac_f32_e32 v3, 0xcf800000, v4
	v_cvt_u32_f32_e32 v4, v4
	v_cvt_u32_f32_e32 v3, v3
	v_mul_lo_u32 v8, s0, v4
	v_mul_hi_u32 v11, s0, v3
	v_mul_lo_u32 v12, s30, v3
	v_add_nc_u32_e32 v8, v11, v8
	v_mul_lo_u32 v11, s0, v3
	v_add_nc_u32_e32 v8, v8, v12
	v_mul_hi_u32 v12, v3, v11
	v_mul_lo_u32 v13, v3, v8
	v_mul_hi_u32 v14, v3, v8
	v_mul_hi_u32 v15, v4, v11
	v_mul_lo_u32 v11, v4, v11
	v_mul_hi_u32 v16, v4, v8
	v_mul_lo_u32 v8, v4, v8
	v_add_co_u32 v12, vcc_lo, v12, v13
	v_add_co_ci_u32_e32 v13, vcc_lo, 0, v14, vcc_lo
	v_add_co_u32 v11, vcc_lo, v12, v11
	v_add_co_ci_u32_e32 v11, vcc_lo, v13, v15, vcc_lo
	v_add_co_ci_u32_e32 v12, vcc_lo, 0, v16, vcc_lo
	v_add_co_u32 v8, vcc_lo, v11, v8
	v_add_co_ci_u32_e32 v11, vcc_lo, 0, v12, vcc_lo
	v_add_co_u32 v3, vcc_lo, v3, v8
	v_add_co_ci_u32_e32 v4, vcc_lo, v4, v11, vcc_lo
	v_mul_hi_u32 v8, s0, v3
	v_mul_lo_u32 v12, s30, v3
	v_mul_lo_u32 v11, s0, v4
	v_add_nc_u32_e32 v8, v8, v11
	v_mul_lo_u32 v11, s0, v3
	v_add_nc_u32_e32 v8, v8, v12
	v_mul_hi_u32 v12, v3, v11
	v_mul_lo_u32 v13, v3, v8
	v_mul_hi_u32 v14, v3, v8
	v_mul_hi_u32 v15, v4, v11
	v_mul_lo_u32 v11, v4, v11
	v_mul_hi_u32 v16, v4, v8
	v_mul_lo_u32 v8, v4, v8
	v_add_co_u32 v12, vcc_lo, v12, v13
	v_add_co_ci_u32_e32 v13, vcc_lo, 0, v14, vcc_lo
	v_add_co_u32 v11, vcc_lo, v12, v11
	v_add_co_ci_u32_e32 v11, vcc_lo, v13, v15, vcc_lo
	v_add_co_ci_u32_e32 v12, vcc_lo, 0, v16, vcc_lo
	v_add_co_u32 v8, vcc_lo, v11, v8
	v_add_co_ci_u32_e32 v11, vcc_lo, 0, v12, vcc_lo
	v_add_co_u32 v8, vcc_lo, v3, v8
	v_add_co_ci_u32_e32 v13, vcc_lo, v4, v11, vcc_lo
	v_mul_hi_u32 v15, v9, v8
	v_mad_u64_u32 v[11:12], null, v10, v8, 0
	v_mad_u64_u32 v[3:4], null, v9, v13, 0
	v_mad_u64_u32 v[13:14], null, v10, v13, 0
	v_add_co_u32 v3, vcc_lo, v15, v3
	v_add_co_ci_u32_e32 v4, vcc_lo, 0, v4, vcc_lo
	v_add_co_u32 v3, vcc_lo, v3, v11
	v_add_co_ci_u32_e32 v3, vcc_lo, v4, v12, vcc_lo
	v_add_co_ci_u32_e32 v4, vcc_lo, 0, v14, vcc_lo
	v_add_co_u32 v8, vcc_lo, v3, v13
	v_add_co_ci_u32_e32 v11, vcc_lo, 0, v4, vcc_lo
	v_mul_lo_u32 v12, s29, v8
	v_mad_u64_u32 v[3:4], null, s28, v8, 0
	v_mul_lo_u32 v13, s28, v11
	v_sub_co_u32 v3, vcc_lo, v9, v3
	v_add3_u32 v4, v4, v13, v12
	v_sub_nc_u32_e32 v12, v10, v4
	v_subrev_co_ci_u32_e64 v12, s0, s29, v12, vcc_lo
	v_add_co_u32 v13, s0, v8, 2
	v_add_co_ci_u32_e64 v14, s0, 0, v11, s0
	v_sub_co_u32 v15, s0, v3, s28
	v_sub_co_ci_u32_e32 v4, vcc_lo, v10, v4, vcc_lo
	v_subrev_co_ci_u32_e64 v12, s0, 0, v12, s0
	v_cmp_le_u32_e32 vcc_lo, s28, v15
	v_cmp_eq_u32_e64 s0, s29, v4
	v_cndmask_b32_e64 v15, 0, -1, vcc_lo
	v_cmp_le_u32_e32 vcc_lo, s29, v12
	v_cndmask_b32_e64 v16, 0, -1, vcc_lo
	v_cmp_le_u32_e32 vcc_lo, s28, v3
	;; [unrolled: 2-line block ×3, first 2 shown]
	v_cndmask_b32_e64 v17, 0, -1, vcc_lo
	v_cmp_eq_u32_e32 vcc_lo, s29, v12
	v_cndmask_b32_e64 v3, v17, v3, s0
	v_cndmask_b32_e32 v12, v16, v15, vcc_lo
	v_add_co_u32 v15, vcc_lo, v8, 1
	v_add_co_ci_u32_e32 v16, vcc_lo, 0, v11, vcc_lo
	v_cmp_ne_u32_e32 vcc_lo, 0, v12
	v_cndmask_b32_e32 v4, v16, v14, vcc_lo
	v_cndmask_b32_e32 v12, v15, v13, vcc_lo
	v_cmp_ne_u32_e32 vcc_lo, 0, v3
	v_cndmask_b32_e32 v4, v11, v4, vcc_lo
	v_cndmask_b32_e32 v3, v8, v12, vcc_lo
.LBB0_4:                                ;   in Loop: Header=BB0_2 Depth=1
	s_andn2_saveexec_b32 s0, s1
	s_cbranch_execz .LBB0_6
; %bb.5:                                ;   in Loop: Header=BB0_2 Depth=1
	v_cvt_f32_u32_e32 v3, s28
	s_sub_i32 s1, 0, s28
	v_rcp_iflag_f32_e32 v3, v3
	v_mul_f32_e32 v3, 0x4f7ffffe, v3
	v_cvt_u32_f32_e32 v3, v3
	v_mul_lo_u32 v4, s1, v3
	v_mul_hi_u32 v4, v3, v4
	v_add_nc_u32_e32 v3, v3, v4
	v_mul_hi_u32 v3, v9, v3
	v_mul_lo_u32 v4, v3, s28
	v_add_nc_u32_e32 v8, 1, v3
	v_sub_nc_u32_e32 v4, v9, v4
	v_subrev_nc_u32_e32 v11, s28, v4
	v_cmp_le_u32_e32 vcc_lo, s28, v4
	v_cndmask_b32_e32 v4, v4, v11, vcc_lo
	v_cndmask_b32_e32 v3, v3, v8, vcc_lo
	v_cmp_le_u32_e32 vcc_lo, s28, v4
	v_add_nc_u32_e32 v8, 1, v3
	v_mov_b32_e32 v4, v7
	v_cndmask_b32_e32 v3, v3, v8, vcc_lo
.LBB0_6:                                ;   in Loop: Header=BB0_2 Depth=1
	s_or_b32 exec_lo, exec_lo, s0
	v_mul_lo_u32 v8, v4, s28
	v_mul_lo_u32 v13, v3, s29
	s_load_dwordx2 s[0:1], s[22:23], 0x0
	v_mad_u64_u32 v[11:12], null, v3, s28, 0
	s_load_dwordx2 s[28:29], s[6:7], 0x0
	s_add_u32 s26, s26, 1
	s_addc_u32 s27, s27, 0
	s_add_u32 s6, s6, 8
	s_addc_u32 s7, s7, 0
	s_add_u32 s22, s22, 8
	v_add3_u32 v8, v12, v13, v8
	v_sub_co_u32 v9, vcc_lo, v9, v11
	s_addc_u32 s23, s23, 0
	s_add_u32 s24, s24, 8
	v_sub_co_ci_u32_e32 v8, vcc_lo, v10, v8, vcc_lo
	s_addc_u32 s25, s25, 0
	s_waitcnt lgkmcnt(0)
	v_mul_lo_u32 v10, s0, v8
	v_mul_lo_u32 v11, s1, v9
	v_mad_u64_u32 v[5:6], null, s0, v9, v[5:6]
	v_mul_lo_u32 v8, s28, v8
	v_mul_lo_u32 v12, s29, v9
	v_mad_u64_u32 v[1:2], null, s28, v9, v[1:2]
	v_cmp_ge_u64_e64 s0, s[26:27], s[14:15]
	v_add3_u32 v6, v11, v6, v10
	v_add3_u32 v2, v12, v2, v8
	s_and_b32 vcc_lo, exec_lo, s0
	s_cbranch_vccnz .LBB0_9
; %bb.7:                                ;   in Loop: Header=BB0_2 Depth=1
	v_mov_b32_e32 v10, v4
	v_mov_b32_e32 v9, v3
	s_branch .LBB0_2
.LBB0_8:
	v_mov_b32_e32 v1, v5
	v_mov_b32_e32 v3, v9
	;; [unrolled: 1-line block ×4, first 2 shown]
.LBB0_9:
	s_load_dwordx2 s[0:1], s[4:5], 0x28
	v_mul_hi_u32 v7, 0x1681682, v0
	s_lshl_b64 s[6:7], s[14:15], 3
                                        ; implicit-def: $sgpr14
                                        ; implicit-def: $sgpr15
                                        ; implicit-def: $vgpr33
                                        ; implicit-def: $vgpr35
                                        ; implicit-def: $vgpr36
	s_add_u32 s4, s18, s6
	s_addc_u32 s5, s19, s7
	s_waitcnt lgkmcnt(0)
	v_cmp_gt_u64_e32 vcc_lo, s[0:1], v[3:4]
	v_cmp_le_u64_e64 s0, s[0:1], v[3:4]
	s_and_saveexec_b32 s1, s0
	s_xor_b32 s0, exec_lo, s1
; %bb.10:
	v_mul_u32_u24_e32 v5, 0xb6, v7
	s_mov_b32 s15, 0
	s_mov_b32 s14, 0
                                        ; implicit-def: $vgpr7
	v_sub_nc_u32_e32 v33, v0, v5
                                        ; implicit-def: $vgpr0
                                        ; implicit-def: $vgpr5_vgpr6
	v_add_nc_u32_e32 v35, 0xb6, v33
	v_add_nc_u32_e32 v36, 0x16c, v33
; %bb.11:
	s_or_saveexec_b32 s1, s0
	s_load_dwordx2 s[4:5], s[4:5], 0x0
	v_mov_b32_e32 v28, s15
	v_mov_b32_e32 v34, s14
	;; [unrolled: 1-line block ×3, first 2 shown]
                                        ; implicit-def: $vgpr16
                                        ; implicit-def: $vgpr24
                                        ; implicit-def: $vgpr18
                                        ; implicit-def: $vgpr26
                                        ; implicit-def: $vgpr21
                                        ; implicit-def: $vgpr30
                                        ; implicit-def: $vgpr32
	s_xor_b32 exec_lo, exec_lo, s1
	s_cbranch_execz .LBB0_15
; %bb.12:
	s_add_u32 s6, s16, s6
	s_addc_u32 s7, s17, s7
	v_mul_u32_u24_e32 v7, 0xb6, v7
	s_load_dwordx2 s[6:7], s[6:7], 0x0
	v_lshlrev_b64 v[5:6], 3, v[5:6]
                                        ; implicit-def: $vgpr31
	v_sub_nc_u32_e32 v33, v0, v7
	v_mad_u64_u32 v[7:8], null, s20, v33, 0
	v_add_nc_u32_e32 v20, 0x27d, v33
	v_add_nc_u32_e32 v35, 0xb6, v33
	;; [unrolled: 1-line block ×5, first 2 shown]
	v_mad_u64_u32 v[9:10], null, s20, v20, 0
	v_mov_b32_e32 v0, v8
	v_mad_u64_u32 v[11:12], null, s20, v35, 0
	s_waitcnt lgkmcnt(0)
	v_mul_lo_u32 v8, s7, v3
	v_mul_lo_u32 v21, s6, v4
	v_mad_u64_u32 v[13:14], null, s6, v3, 0
	v_mad_u64_u32 v[15:16], null, s20, v22, 0
	;; [unrolled: 1-line block ×3, first 2 shown]
	v_mov_b32_e32 v0, v10
	v_mov_b32_e32 v10, v12
	v_add3_u32 v14, v14, v21, v8
	v_mad_u64_u32 v[18:19], null, s20, v36, 0
	v_mov_b32_e32 v12, v16
	v_mov_b32_e32 v8, v17
	v_lshlrev_b64 v[13:14], 3, v[13:14]
	v_mad_u64_u32 v[16:17], null, s21, v20, v[0:1]
	v_mad_u64_u32 v[20:21], null, s21, v35, v[10:11]
	v_lshlrev_b64 v[7:8], 3, v[7:8]
	v_add_co_u32 v0, s0, s8, v13
	v_add_co_ci_u32_e64 v13, s0, s9, v14, s0
	v_mov_b32_e32 v10, v16
	v_add_co_u32 v0, s0, v0, v5
	v_add_co_ci_u32_e64 v5, s0, v13, v6, s0
	v_mad_u64_u32 v[13:14], null, s21, v22, v[12:13]
	v_add_co_u32 v6, s0, v0, v7
	v_lshlrev_b64 v[9:10], 3, v[9:10]
	v_mad_u64_u32 v[21:22], null, s20, v23, 0
	v_add_co_ci_u32_e64 v7, s0, v5, v8, s0
	v_mov_b32_e32 v8, v19
	v_mov_b32_e32 v16, v13
	;; [unrolled: 1-line block ×3, first 2 shown]
	s_mov_b32 s6, exec_lo
	v_mad_u64_u32 v[13:14], null, s21, v36, v[8:9]
	v_mov_b32_e32 v8, v22
	v_add_co_u32 v9, s0, v0, v9
	v_lshlrev_b64 v[11:12], 3, v[11:12]
	v_lshlrev_b64 v[14:15], 3, v[15:16]
	v_add_co_ci_u32_e64 v10, s0, v5, v10, s0
	v_mad_u64_u32 v[22:23], null, s21, v23, v[8:9]
	v_mov_b32_e32 v19, v13
	v_add_co_u32 v11, s0, v0, v11
	v_add_co_ci_u32_e64 v12, s0, v5, v12, s0
	v_lshlrev_b64 v[16:17], 3, v[18:19]
	v_add_co_u32 v13, s0, v0, v14
	v_lshlrev_b64 v[18:19], 3, v[21:22]
	v_add_co_ci_u32_e64 v14, s0, v5, v15, s0
	v_add_co_u32 v20, s0, v0, v16
	v_add_co_ci_u32_e64 v21, s0, v5, v17, s0
	v_add_co_u32 v27, s0, v0, v18
	v_add_co_ci_u32_e64 v28, s0, v5, v19, s0
	s_clause 0x5
	global_load_dwordx2 v[15:16], v[6:7], off
	global_load_dwordx2 v[23:24], v[9:10], off
	;; [unrolled: 1-line block ×6, first 2 shown]
	v_mov_b32_e32 v27, 0
	v_mov_b32_e32 v28, 0
	v_cmpx_gt_u32_e32 0x5b, v33
	s_cbranch_execz .LBB0_14
; %bb.13:
	v_add_nc_u32_e32 v10, 0x222, v33
	v_add_nc_u32_e32 v12, 0x49f, v33
	v_mad_u64_u32 v[6:7], null, s20, v10, 0
	v_mad_u64_u32 v[8:9], null, s20, v12, 0
	;; [unrolled: 1-line block ×4, first 2 shown]
	v_mov_b32_e32 v7, v10
	v_lshlrev_b64 v[6:7], 3, v[6:7]
	v_mov_b32_e32 v9, v11
	v_add_co_u32 v6, s0, v0, v6
	v_lshlrev_b64 v[8:9], 3, v[8:9]
	v_add_co_ci_u32_e64 v7, s0, v5, v7, s0
	v_add_co_u32 v8, s0, v0, v8
	v_add_co_ci_u32_e64 v9, s0, v5, v9, s0
	s_clause 0x1
	global_load_dwordx2 v[27:28], v[6:7], off
	global_load_dwordx2 v[31:32], v[8:9], off
.LBB0_14:
	s_or_b32 exec_lo, exec_lo, s6
	v_mov_b32_e32 v34, v33
.LBB0_15:
	s_or_b32 exec_lo, exec_lo, s1
	s_waitcnt vmcnt(4)
	v_sub_f32_e32 v8, v15, v23
	s_waitcnt vmcnt(2)
	v_sub_f32_e32 v14, v17, v25
	;; [unrolled: 2-line block ×3, first 2 shown]
	v_sub_f32_e32 v10, v27, v31
	v_add_nc_u32_e32 v5, 0x222, v33
	v_fma_f32 v7, v15, 2.0, -v8
	v_fma_f32 v13, v17, 2.0, -v14
	;; [unrolled: 1-line block ×4, first 2 shown]
	v_lshl_add_u32 v0, v33, 3, 0
	v_lshl_add_u32 v37, v35, 3, 0
	;; [unrolled: 1-line block ×3, first 2 shown]
	v_cmp_gt_u32_e64 s1, 0x5b, v33
	v_lshl_add_u32 v29, v5, 3, 0
	ds_write_b64 v0, v[7:8]
	ds_write_b64 v37, v[13:14]
	;; [unrolled: 1-line block ×3, first 2 shown]
	s_and_saveexec_b32 s0, s1
	s_cbranch_execz .LBB0_17
; %bb.16:
	ds_write_b64 v29, v[9:10]
.LBB0_17:
	s_or_b32 exec_lo, exec_lo, s0
	v_cmp_gt_u32_e64 s0, 0x62, v33
	v_lshlrev_b32_e32 v15, 2, v33
	s_waitcnt lgkmcnt(0)
	s_barrier
	buffer_gl0_inv
                                        ; implicit-def: $vgpr46
                                        ; implicit-def: $vgpr20
                                        ; implicit-def: $vgpr23
	s_and_saveexec_b32 s6, s0
	s_cbranch_execz .LBB0_19
; %bb.18:
	v_sub_nc_u32_e32 v5, v0, v15
	v_add_nc_u32_e32 v6, 0x200, v5
	v_add_nc_u32_e32 v9, 0x400, v5
	;; [unrolled: 1-line block ×5, first 2 shown]
	ds_read2_b32 v[7:8], v5 offset1:98
	ds_read2_b32 v[13:14], v6 offset0:68 offset1:166
	ds_read2_b32 v[11:12], v9 offset0:136 offset1:234
	;; [unrolled: 1-line block ×5, first 2 shown]
	ds_read_b32 v46, v5 offset:4704
.LBB0_19:
	s_or_b32 exec_lo, exec_lo, s6
	v_sub_f32_e32 v6, v16, v24
	v_sub_f32_e32 v27, v18, v26
	;; [unrolled: 1-line block ×4, first 2 shown]
	s_waitcnt lgkmcnt(0)
	v_fma_f32 v5, v16, 2.0, -v6
	v_fma_f32 v26, v18, 2.0, -v27
	;; [unrolled: 1-line block ×4, first 2 shown]
	s_barrier
	buffer_gl0_inv
	ds_write_b64 v0, v[5:6]
	ds_write_b64 v37, v[26:27]
	;; [unrolled: 1-line block ×3, first 2 shown]
	s_and_saveexec_b32 s6, s1
	s_cbranch_execz .LBB0_21
; %bb.20:
	ds_write_b64 v29, v[16:17]
.LBB0_21:
	s_or_b32 exec_lo, exec_lo, s6
	s_waitcnt lgkmcnt(0)
	s_barrier
	buffer_gl0_inv
                                        ; implicit-def: $vgpr47
                                        ; implicit-def: $vgpr29
                                        ; implicit-def: $vgpr31
	s_and_saveexec_b32 s1, s0
	s_cbranch_execz .LBB0_23
; %bb.22:
	v_sub_nc_u32_e32 v0, v0, v15
	v_add_nc_u32_e32 v15, 0x200, v0
	v_add_nc_u32_e32 v16, 0x400, v0
	;; [unrolled: 1-line block ×5, first 2 shown]
	ds_read2_b32 v[5:6], v0 offset1:98
	ds_read2_b32 v[26:27], v15 offset0:68 offset1:166
	ds_read2_b32 v[24:25], v16 offset0:136 offset1:234
	;; [unrolled: 1-line block ×5, first 2 shown]
	ds_read_b32 v47, v0 offset:4704
.LBB0_23:
	s_or_b32 exec_lo, exec_lo, s1
	v_and_b32_e32 v0, 1, v33
	v_mul_u32_u24_e32 v15, 12, v0
	v_lshlrev_b32_e32 v15, 3, v15
	s_clause 0x5
	global_load_dwordx4 v[38:41], v15, s[12:13]
	global_load_dwordx4 v[48:51], v15, s[12:13] offset:16
	global_load_dwordx4 v[52:55], v15, s[12:13] offset:32
	;; [unrolled: 1-line block ×5, first 2 shown]
	s_waitcnt vmcnt(0) lgkmcnt(0)
	s_barrier
	buffer_gl0_inv
	v_mul_f32_e32 v15, v6, v39
	v_mul_f32_e32 v43, v8, v39
	;; [unrolled: 1-line block ×8, first 2 shown]
	v_fma_f32 v44, v8, v38, -v15
	v_fmac_f32_e32 v43, v6, v38
	v_mul_f32_e32 v6, v25, v53
	v_mul_f32_e32 v15, v12, v53
	v_fma_f32 v42, v13, v40, -v18
	v_fmac_f32_e32 v41, v26, v40
	v_mul_f32_e32 v8, v16, v55
	v_mul_f32_e32 v13, v9, v55
	v_fma_f32 v38, v14, v48, -v21
	v_mul_f32_e32 v45, v17, v57
	v_mul_f32_e32 v14, v10, v57
	v_fmac_f32_e32 v37, v27, v48
	v_mul_f32_e32 v48, v30, v59
	v_mul_f32_e32 v18, v22, v59
	v_fma_f32 v26, v11, v50, -v39
	v_fmac_f32_e32 v32, v24, v50
	v_mul_f32_e32 v49, v31, v61
	v_mul_f32_e32 v24, v23, v61
	;; [unrolled: 1-line block ×4, first 2 shown]
	v_fma_f32 v21, v12, v52, -v6
	v_mul_f32_e32 v6, v29, v65
	v_mul_f32_e32 v39, v20, v65
	v_fmac_f32_e32 v15, v25, v52
	v_mul_f32_e32 v25, v47, v67
	v_mul_f32_e32 v40, v46, v67
	v_fma_f32 v11, v9, v54, -v8
	v_fmac_f32_e32 v13, v16, v54
	v_fma_f32 v12, v10, v56, -v45
	v_fmac_f32_e32 v14, v17, v56
	;; [unrolled: 2-line block ×7, first 2 shown]
	v_lshrrev_b32_e32 v10, 1, v33
	s_and_saveexec_b32 s1, s0
	s_cbranch_execz .LBB0_25
; %bb.24:
	v_sub_f32_e32 v6, v43, v40
	v_add_f32_e32 v8, v44, v46
	v_sub_f32_e32 v16, v41, v39
	v_add_f32_e32 v9, v42, v45
	v_sub_f32_e32 v23, v37, v27
	v_mul_f32_e32 v20, 0xbe750f2a, v6
	v_add_f32_e32 v19, v38, v30
	v_mul_f32_e32 v29, 0x3eedf032, v16
	v_sub_f32_e32 v28, v32, v24
	v_mul_f32_e32 v49, 0xbf29c268, v23
	v_fmamk_f32 v31, v8, 0xbf788fa5, v20
	v_add_f32_e32 v25, v26, v22
	v_fmamk_f32 v50, v9, 0x3f62ad3f, v29
	v_sub_f32_e32 v48, v15, v18
	v_mul_f32_e32 v53, 0x3f52af12, v28
	v_add_f32_e32 v31, v7, v31
	v_fmamk_f32 v54, v19, 0xbf3f9e67, v49
	v_fma_f32 v20, 0xbf788fa5, v8, -v20
	v_add_f32_e32 v47, v21, v17
	v_fmamk_f32 v55, v25, 0x3f116cb1, v53
	v_add_f32_e32 v31, v50, v31
	v_mul_f32_e32 v50, 0xbf6f5d39, v48
	v_fma_f32 v29, 0x3f62ad3f, v9, -v29
	v_add_f32_e32 v20, v7, v20
	v_fma_f32 v49, 0xbf3f9e67, v19, -v49
	v_add_f32_e32 v31, v54, v31
	v_mul_f32_e32 v54, 0xbf29c268, v6
	v_fmamk_f32 v56, v47, 0xbeb58ec6, v50
	v_add_f32_e32 v20, v29, v20
	v_mul_f32_e32 v57, 0x3f7e222b, v16
	v_add_f32_e32 v31, v55, v31
	v_fmamk_f32 v55, v8, 0xbf3f9e67, v54
	v_sub_f32_e32 v52, v13, v14
	v_add_f32_e32 v20, v49, v20
	v_fma_f32 v49, 0x3f116cb1, v25, -v53
	v_add_f32_e32 v31, v56, v31
	v_add_f32_e32 v53, v7, v55
	v_fmamk_f32 v55, v9, 0x3df6dbef, v57
	v_mul_f32_e32 v56, 0xbf52af12, v23
	v_add_f32_e32 v51, v11, v12
	v_mul_f32_e32 v29, 0x3f7e222b, v52
	v_add_f32_e32 v20, v49, v20
	v_fma_f32 v49, 0xbeb58ec6, v47, -v50
	v_add_f32_e32 v50, v55, v53
	v_fmamk_f32 v53, v19, 0x3f116cb1, v56
	v_mul_f32_e32 v55, 0x3e750f2a, v28
	v_fmamk_f32 v58, v51, 0x3df6dbef, v29
	v_add_f32_e32 v20, v49, v20
	v_fma_f32 v49, 0xbf3f9e67, v8, -v54
	v_add_f32_e32 v50, v53, v50
	v_fmamk_f32 v53, v25, 0xbf788fa5, v55
	v_mul_f32_e32 v54, 0x3eedf032, v48
	v_add_f32_e32 v31, v58, v31
	v_fma_f32 v29, 0x3df6dbef, v51, -v29
	v_add_f32_e32 v49, v7, v49
	v_fma_f32 v57, 0x3df6dbef, v9, -v57
	v_add_f32_e32 v50, v53, v50
	v_fmamk_f32 v53, v47, 0x3f62ad3f, v54
	v_mul_f32_e32 v58, 0xbf6f5d39, v6
	v_add_f32_e32 v20, v29, v20
	v_add_f32_e32 v29, v57, v49
	v_fma_f32 v49, 0x3f116cb1, v19, -v56
	v_add_f32_e32 v50, v53, v50
	v_fmamk_f32 v53, v8, 0xbeb58ec6, v58
	v_mul_f32_e32 v56, 0x3f29c268, v16
	v_mul_f32_e32 v59, 0x3eedf032, v23
	v_add_f32_e32 v29, v49, v29
	v_fma_f32 v49, 0xbf788fa5, v25, -v55
	v_add_f32_e32 v53, v7, v53
	v_fmamk_f32 v55, v9, 0xbf3f9e67, v56
	v_mul_f32_e32 v57, 0xbf6f5d39, v52
	v_fma_f32 v58, 0xbeb58ec6, v8, -v58
	v_add_f32_e32 v29, v49, v29
	v_fma_f32 v49, 0x3f62ad3f, v47, -v54
	v_add_f32_e32 v53, v55, v53
	v_fmamk_f32 v54, v19, 0x3f62ad3f, v59
	v_mul_f32_e32 v55, 0xbf7e222b, v28
	v_fmamk_f32 v60, v51, 0xbeb58ec6, v57
	v_add_f32_e32 v29, v49, v29
	v_add_f32_e32 v58, v7, v58
	;; [unrolled: 1-line block ×3, first 2 shown]
	v_fmamk_f32 v53, v25, 0x3df6dbef, v55
	v_mul_f32_e32 v54, 0x3e750f2a, v48
	v_fma_f32 v56, 0xbf3f9e67, v9, -v56
	v_add_f32_e32 v50, v60, v50
	v_fma_f32 v57, 0xbeb58ec6, v51, -v57
	v_add_f32_e32 v49, v53, v49
	v_fmamk_f32 v53, v47, 0xbf788fa5, v54
	v_mul_f32_e32 v60, 0x3f52af12, v52
	v_add_f32_e32 v56, v56, v58
	v_mul_f32_e32 v58, 0xbf7e222b, v6
	v_fma_f32 v59, 0x3f62ad3f, v19, -v59
	v_add_f32_e32 v29, v57, v29
	v_add_f32_e32 v49, v53, v49
	v_fmamk_f32 v53, v51, 0x3f116cb1, v60
	v_fmamk_f32 v57, v8, 0x3df6dbef, v58
	v_add_f32_e32 v56, v59, v56
	v_mul_f32_e32 v59, 0xbe750f2a, v16
	v_fma_f32 v55, 0x3df6dbef, v25, -v55
	v_add_f32_e32 v49, v53, v49
	v_add_f32_e32 v53, v7, v57
	v_fma_f32 v57, 0x3df6dbef, v8, -v58
	v_fmamk_f32 v58, v9, 0xbf788fa5, v59
	v_add_f32_e32 v55, v55, v56
	v_mul_f32_e32 v56, 0x3f6f5d39, v23
	v_fma_f32 v54, 0xbf788fa5, v47, -v54
	v_add_f32_e32 v57, v7, v57
	v_fma_f32 v59, 0xbf788fa5, v9, -v59
	v_add_f32_e32 v53, v58, v53
	v_fmamk_f32 v58, v19, 0xbeb58ec6, v56
	v_add_f32_e32 v54, v54, v55
	v_fma_f32 v56, 0xbeb58ec6, v19, -v56
	v_add_f32_e32 v55, v59, v57
	v_mul_f32_e32 v61, 0x3eedf032, v28
	v_fma_f32 v59, 0x3f116cb1, v51, -v60
	v_add_f32_e32 v53, v58, v53
	v_mul_f32_e32 v58, 0xbf52af12, v48
	v_add_f32_e32 v55, v56, v55
	v_mul_f32_e32 v56, 0xbf52af12, v6
	v_fmamk_f32 v57, v25, 0x3f62ad3f, v61
	v_fma_f32 v60, 0x3f62ad3f, v25, -v61
	v_add_f32_e32 v54, v59, v54
	v_mul_f32_e32 v61, 0xbf6f5d39, v16
	v_fmamk_f32 v59, v8, 0x3f116cb1, v56
	v_add_f32_e32 v53, v57, v53
	v_fmamk_f32 v57, v47, 0x3f116cb1, v58
	v_add_f32_e32 v55, v60, v55
	v_fma_f32 v58, 0x3f116cb1, v47, -v58
	v_mul_f32_e32 v60, 0xbf29c268, v52
	v_add_f32_e32 v59, v7, v59
	v_fmamk_f32 v62, v9, 0xbeb58ec6, v61
	v_add_f32_e32 v53, v57, v53
	v_add_f32_e32 v55, v58, v55
	v_fma_f32 v57, 0xbf3f9e67, v51, -v60
	v_mul_f32_e32 v6, 0xbeedf032, v6
	v_add_f32_e32 v58, v62, v59
	v_mul_f32_e32 v59, 0xbe750f2a, v23
	v_fma_f32 v56, 0x3f116cb1, v8, -v56
	v_add_f32_e32 v55, v57, v55
	v_fmamk_f32 v57, v8, 0x3f62ad3f, v6
	v_fma_f32 v6, 0x3f62ad3f, v8, -v6
	v_fmamk_f32 v8, v19, 0xbf788fa5, v59
	v_add_f32_e32 v56, v7, v56
	v_fma_f32 v61, 0xbeb58ec6, v9, -v61
	v_mul_f32_e32 v62, 0x3f29c268, v28
	v_add_f32_e32 v63, v7, v44
	v_add_f32_e32 v8, v8, v58
	;; [unrolled: 1-line block ×4, first 2 shown]
	v_fmamk_f32 v58, v25, 0xbf3f9e67, v62
	v_add_f32_e32 v61, v63, v42
	v_add_f32_e32 v6, v7, v6
	v_fma_f32 v59, 0xbf788fa5, v19, -v59
	v_mul_f32_e32 v16, 0xbf52af12, v16
	v_add_f32_e32 v7, v58, v8
	v_add_f32_e32 v8, v61, v38
	v_mul_f32_e32 v63, 0x3f7e222b, v48
	v_add_f32_e32 v56, v59, v56
	v_fmamk_f32 v59, v51, 0xbf3f9e67, v60
	v_fma_f32 v60, 0xbf3f9e67, v25, -v62
	v_add_f32_e32 v8, v8, v26
	v_mul_f32_e32 v23, 0xbf7e222b, v23
	v_fma_f32 v61, 0x3df6dbef, v47, -v63
	v_mul_f32_e32 v28, 0xbf6f5d39, v28
	v_add_f32_e32 v56, v60, v56
	v_add_f32_e32 v8, v8, v21
	v_fmamk_f32 v60, v9, 0x3f116cb1, v16
	v_fma_f32 v9, 0x3f116cb1, v9, -v16
	v_fmamk_f32 v58, v47, 0x3df6dbef, v63
	v_add_f32_e32 v8, v8, v11
	v_add_f32_e32 v57, v60, v57
	;; [unrolled: 1-line block ×3, first 2 shown]
	v_fma_f32 v9, 0x3df6dbef, v19, -v23
	v_fmamk_f32 v60, v19, 0x3df6dbef, v23
	v_add_f32_e32 v8, v8, v12
	v_add_f32_e32 v19, v61, v56
	v_fmamk_f32 v56, v25, 0xbeb58ec6, v28
	v_add_f32_e32 v6, v9, v6
	v_fma_f32 v9, 0xbeb58ec6, v25, -v28
	v_add_f32_e32 v8, v8, v17
	v_mul_f32_e32 v25, 0xbf29c268, v48
	v_add_f32_e32 v7, v58, v7
	v_mul_f32_e32 v58, 0x3eedf032, v52
	v_add_f32_e32 v23, v60, v57
	v_add_f32_e32 v8, v8, v22
	;; [unrolled: 1-line block ×3, first 2 shown]
	v_fma_f32 v9, 0xbf3f9e67, v47, -v25
	v_mul_f32_e32 v48, 0xbe750f2a, v52
	v_mul_u32_u24_e32 v52, 26, v10
	v_add_f32_e32 v8, v8, v30
	v_add_f32_e32 v23, v56, v23
	v_fmamk_f32 v25, v47, 0xbf3f9e67, v25
	v_add_f32_e32 v6, v9, v6
	v_fma_f32 v9, 0xbf788fa5, v51, -v48
	v_add_f32_e32 v8, v8, v45
	v_or_b32_e32 v47, v52, v0
	v_fma_f32 v28, 0x3f62ad3f, v51, -v58
	v_fmamk_f32 v16, v51, 0x3f62ad3f, v58
	v_add_f32_e32 v23, v25, v23
	v_fmamk_f32 v25, v51, 0xbf788fa5, v48
	v_add_f32_e32 v6, v9, v6
	v_add_f32_e32 v8, v8, v46
	v_lshl_add_u32 v9, v47, 2, 0
	v_add_f32_e32 v19, v28, v19
	v_add_f32_e32 v28, v59, v53
	;; [unrolled: 1-line block ×4, first 2 shown]
	ds_write2_b32 v9, v8, v6 offset1:2
	ds_write2_b32 v9, v19, v55 offset0:4 offset1:6
	ds_write2_b32 v9, v54, v29 offset0:8 offset1:10
	;; [unrolled: 1-line block ×5, first 2 shown]
	ds_write_b32 v9, v16 offset:96
.LBB0_25:
	s_or_b32 exec_lo, exec_lo, s1
	v_lshl_add_u32 v16, v33, 2, 0
	v_lshl_add_u32 v19, v35, 2, 0
	;; [unrolled: 1-line block ×3, first 2 shown]
	s_waitcnt lgkmcnt(0)
	s_barrier
	v_add_nc_u32_e32 v23, 0x800, v16
	v_add_nc_u32_e32 v25, 0xe00, v16
	buffer_gl0_inv
	ds_read_b32 v28, v16
	ds_read_b32 v31, v19
	;; [unrolled: 1-line block ×3, first 2 shown]
	ds_read2_b32 v[8:9], v23 offset0:34 offset1:216
	ds_read2_b32 v[6:7], v25 offset0:14 offset1:196
	s_waitcnt lgkmcnt(0)
	s_barrier
	buffer_gl0_inv
	s_and_saveexec_b32 s1, s0
	s_cbranch_execz .LBB0_27
; %bb.26:
	v_add_f32_e32 v35, v5, v43
	v_sub_f32_e32 v36, v44, v46
	v_add_f32_e32 v43, v43, v40
	v_add_f32_e32 v44, v41, v39
	v_sub_f32_e32 v42, v42, v45
	v_add_f32_e32 v35, v35, v41
	v_mul_f32_e32 v41, 0xbeedf032, v36
	v_mul_f32_e32 v45, 0xbf52af12, v36
	;; [unrolled: 1-line block ×4, first 2 shown]
	v_add_f32_e32 v35, v35, v37
	v_mul_f32_e32 v48, 0xbf29c268, v36
	v_mul_f32_e32 v36, 0xbe750f2a, v36
	;; [unrolled: 1-line block ×4, first 2 shown]
	v_add_f32_e32 v35, v35, v32
	v_fmamk_f32 v53, v43, 0x3f62ad3f, v41
	v_fma_f32 v41, 0x3f62ad3f, v43, -v41
	v_fmamk_f32 v54, v43, 0x3f116cb1, v45
	v_fma_f32 v45, 0x3f116cb1, v43, -v45
	v_add_f32_e32 v35, v35, v15
	v_mul_f32_e32 v51, 0xbe750f2a, v42
	v_mul_f32_e32 v52, 0x3f29c268, v42
	v_fmamk_f32 v55, v43, 0x3df6dbef, v46
	v_fma_f32 v46, 0x3df6dbef, v43, -v46
	v_add_f32_e32 v35, v35, v13
	v_fmamk_f32 v56, v43, 0xbeb58ec6, v47
	v_fma_f32 v47, 0xbeb58ec6, v43, -v47
	v_fmamk_f32 v57, v43, 0xbf3f9e67, v48
	v_fma_f32 v48, 0xbf3f9e67, v43, -v48
	v_add_f32_e32 v35, v35, v14
	v_fmamk_f32 v58, v43, 0xbf788fa5, v36
	v_fma_f32 v36, 0xbf788fa5, v43, -v36
	;; [unrolled: 5-line block ×3, first 2 shown]
	v_add_f32_e32 v53, v5, v53
	v_add_f32_e32 v41, v5, v41
	;; [unrolled: 1-line block ×17, first 2 shown]
	v_fmamk_f32 v43, v44, 0xbf788fa5, v51
	v_add_f32_e32 v45, v50, v45
	v_fma_f32 v49, 0xbf788fa5, v44, -v51
	v_fmamk_f32 v50, v44, 0xbf3f9e67, v52
	v_fma_f32 v51, 0xbf3f9e67, v44, -v52
	v_mul_f32_e32 v52, 0x3f7e222b, v42
	v_sub_f32_e32 v30, v38, v30
	v_add_f32_e32 v46, v49, v46
	v_add_f32_e32 v49, v50, v56
	v_mul_f32_e32 v42, 0x3eedf032, v42
	v_fma_f32 v50, 0x3df6dbef, v44, -v52
	v_add_f32_e32 v27, v37, v27
	v_mul_f32_e32 v37, 0xbf7e222b, v30
	v_add_f32_e32 v47, v51, v47
	v_fmamk_f32 v38, v44, 0x3df6dbef, v52
	v_fmamk_f32 v51, v44, 0x3f62ad3f, v42
	v_fma_f32 v42, 0x3f62ad3f, v44, -v42
	v_add_f32_e32 v44, v50, v48
	v_fmamk_f32 v48, v27, 0x3df6dbef, v37
	v_mul_f32_e32 v50, 0xbe750f2a, v30
	v_add_f32_e32 v35, v35, v40
	v_add_f32_e32 v40, v59, v54
	;; [unrolled: 1-line block ×4, first 2 shown]
	v_fmamk_f32 v42, v27, 0xbf788fa5, v50
	v_mul_f32_e32 v48, 0x3f6f5d39, v30
	v_add_f32_e32 v43, v43, v55
	v_fma_f32 v37, 0x3df6dbef, v27, -v37
	v_sub_f32_e32 v22, v26, v22
	v_add_f32_e32 v40, v42, v40
	v_fmamk_f32 v42, v27, 0xbeb58ec6, v48
	v_add_f32_e32 v38, v38, v57
	v_fma_f32 v50, 0xbf788fa5, v27, -v50
	v_add_f32_e32 v37, v37, v41
	v_mul_f32_e32 v41, 0x3eedf032, v30
	v_add_f32_e32 v42, v42, v43
	v_mul_f32_e32 v43, 0xbf52af12, v30
	v_mul_f32_e32 v30, 0xbf29c268, v30
	v_add_f32_e32 v24, v32, v24
	v_mul_f32_e32 v32, 0xbf6f5d39, v22
	v_add_f32_e32 v45, v50, v45
	v_fmamk_f32 v26, v27, 0x3f116cb1, v43
	v_fma_f32 v43, 0x3f116cb1, v27, -v43
	v_fma_f32 v48, 0xbeb58ec6, v27, -v48
	v_fmamk_f32 v50, v27, 0x3f62ad3f, v41
	v_fma_f32 v41, 0x3f62ad3f, v27, -v41
	v_add_f32_e32 v26, v26, v38
	v_fmamk_f32 v38, v27, 0xbf3f9e67, v30
	v_add_f32_e32 v43, v43, v44
	v_fma_f32 v27, 0xbf3f9e67, v27, -v30
	v_fmamk_f32 v30, v24, 0xbeb58ec6, v32
	v_mul_f32_e32 v44, 0x3f29c268, v22
	v_add_f32_e32 v39, v51, v39
	v_fma_f32 v32, 0xbeb58ec6, v24, -v32
	v_add_f32_e32 v5, v27, v5
	v_add_f32_e32 v27, v30, v36
	v_fmamk_f32 v30, v24, 0xbf3f9e67, v44
	v_mul_f32_e32 v36, 0x3eedf032, v22
	v_add_f32_e32 v38, v38, v39
	v_mul_f32_e32 v39, 0xbf7e222b, v22
	v_sub_f32_e32 v17, v21, v17
	v_add_f32_e32 v30, v30, v40
	v_fmamk_f32 v40, v24, 0x3f62ad3f, v36
	v_add_f32_e32 v41, v41, v47
	v_add_f32_e32 v32, v32, v37
	v_fma_f32 v37, 0xbf3f9e67, v24, -v44
	v_fmamk_f32 v44, v24, 0x3df6dbef, v39
	v_fma_f32 v39, 0x3df6dbef, v24, -v39
	v_add_f32_e32 v40, v40, v42
	v_mul_f32_e32 v42, 0x3e750f2a, v22
	v_mul_f32_e32 v21, 0x3f52af12, v22
	v_add_f32_e32 v15, v15, v18
	v_mul_f32_e32 v18, 0xbf29c268, v17
	v_fma_f32 v36, 0x3f62ad3f, v24, -v36
	v_add_f32_e32 v39, v39, v41
	v_fmamk_f32 v22, v24, 0xbf788fa5, v42
	v_fma_f32 v41, 0xbf788fa5, v24, -v42
	v_fmamk_f32 v42, v24, 0x3f116cb1, v21
	v_fma_f32 v21, 0x3f116cb1, v24, -v21
	v_fmamk_f32 v24, v15, 0xbf3f9e67, v18
	v_add_f32_e32 v46, v48, v46
	v_add_f32_e32 v22, v22, v26
	;; [unrolled: 1-line block ×3, first 2 shown]
	v_mul_f32_e32 v41, 0x3f7e222b, v17
	v_fma_f32 v18, 0xbf3f9e67, v15, -v18
	v_add_f32_e32 v5, v21, v5
	v_add_f32_e32 v21, v24, v27
	v_mul_f32_e32 v24, 0xbf52af12, v17
	v_add_f32_e32 v37, v37, v45
	v_add_f32_e32 v36, v36, v46
	;; [unrolled: 1-line block ×3, first 2 shown]
	v_fmamk_f32 v27, v15, 0x3df6dbef, v41
	v_add_f32_e32 v18, v18, v32
	v_fma_f32 v32, 0x3df6dbef, v15, -v41
	v_mul_f32_e32 v41, 0x3e750f2a, v17
	v_fmamk_f32 v42, v15, 0x3f116cb1, v24
	v_fma_f32 v24, 0x3f116cb1, v15, -v24
	v_add_f32_e32 v27, v27, v30
	v_add_f32_e32 v30, v32, v37
	v_sub_f32_e32 v11, v11, v12
	v_add_f32_e32 v37, v42, v40
	v_fma_f32 v40, 0xbf788fa5, v15, -v41
	v_add_f32_e32 v24, v24, v36
	v_mul_f32_e32 v36, 0x3eedf032, v17
	v_mul_f32_e32 v17, 0xbf6f5d39, v17
	v_fmamk_f32 v32, v15, 0xbf788fa5, v41
	v_add_f32_e32 v39, v40, v39
	v_add_f32_e32 v13, v13, v14
	v_fmamk_f32 v12, v15, 0x3f62ad3f, v36
	v_fma_f32 v36, 0x3f62ad3f, v15, -v36
	v_fmamk_f32 v40, v15, 0xbeb58ec6, v17
	v_mul_f32_e32 v14, 0xbe750f2a, v11
	v_fma_f32 v15, 0xbeb58ec6, v15, -v17
	v_add_f32_e32 v12, v12, v22
	v_add_f32_e32 v22, v36, v26
	v_mul_f32_e32 v36, 0x3eedf032, v11
	v_fmamk_f32 v26, v13, 0xbf788fa5, v14
	v_fma_f32 v14, 0xbf788fa5, v13, -v14
	v_add_f32_e32 v5, v15, v5
	v_mul_f32_e32 v15, 0xbf29c268, v11
	v_add_f32_e32 v48, v50, v49
	v_add_f32_e32 v21, v26, v21
	;; [unrolled: 1-line block ×3, first 2 shown]
	v_fmamk_f32 v18, v13, 0x3f62ad3f, v36
	v_fma_f32 v26, 0x3f62ad3f, v13, -v36
	v_fmamk_f32 v36, v13, 0xbf3f9e67, v15
	v_add_f32_e32 v44, v44, v48
	v_add_f32_e32 v17, v40, v38
	v_fma_f32 v15, 0xbf3f9e67, v13, -v15
	v_mul_f32_e32 v38, 0x3f52af12, v11
	v_mul_u32_u24_e32 v10, 26, v10
	v_add_f32_e32 v18, v18, v27
	v_add_f32_e32 v27, v36, v37
	v_mul_f32_e32 v36, 0xbf6f5d39, v11
	v_add_f32_e32 v32, v32, v44
	v_add_f32_e32 v15, v15, v24
	v_fmamk_f32 v24, v13, 0x3f116cb1, v38
	v_mul_f32_e32 v11, 0x3f7e222b, v11
	v_or_b32_e32 v0, v10, v0
	v_fmamk_f32 v10, v13, 0xbeb58ec6, v36
	v_add_f32_e32 v26, v26, v30
	v_add_f32_e32 v24, v24, v32
	v_fmamk_f32 v32, v13, 0x3df6dbef, v11
	v_fma_f32 v11, 0x3df6dbef, v13, -v11
	v_fma_f32 v30, 0x3f116cb1, v13, -v38
	;; [unrolled: 1-line block ×3, first 2 shown]
	v_lshl_add_u32 v0, v0, 2, 0
	v_add_f32_e32 v10, v10, v12
	v_add_f32_e32 v12, v32, v17
	;; [unrolled: 1-line block ×5, first 2 shown]
	ds_write2_b32 v0, v35, v21 offset1:2
	ds_write2_b32 v0, v18, v27 offset0:4 offset1:6
	ds_write2_b32 v0, v24, v10 offset0:8 offset1:10
	;; [unrolled: 1-line block ×5, first 2 shown]
	ds_write_b32 v0, v14 offset:96
.LBB0_27:
	s_or_b32 exec_lo, exec_lo, s1
	v_and_b32_e32 v0, 0xff, v33
	v_mov_b32_e32 v10, 6
	s_waitcnt lgkmcnt(0)
	s_barrier
	buffer_gl0_inv
	v_mul_lo_u16 v0, 0x4f, v0
	v_mov_b32_e32 v24, 0x2d8
	v_mov_b32_e32 v26, 2
	v_lshrrev_b16 v0, 11, v0
	v_mul_lo_u16 v5, v0, 26
	v_mul_u32_u24_sdwa v0, v0, v24 dst_sel:DWORD dst_unused:UNUSED_PAD src0_sel:WORD_0 src1_sel:DWORD
	v_sub_nc_u16 v5, v33, v5
	v_mul_u32_u24_sdwa v10, v5, v10 dst_sel:DWORD dst_unused:UNUSED_PAD src0_sel:BYTE_0 src1_sel:DWORD
	v_lshlrev_b32_sdwa v5, v26, v5 dst_sel:DWORD dst_unused:UNUSED_PAD src0_sel:DWORD src1_sel:BYTE_0
	v_lshlrev_b32_e32 v14, 3, v10
	v_add3_u32 v26, 0, v0, v5
	s_clause 0x2
	global_load_dwordx4 v[10:13], v14, s[12:13] offset:192
	global_load_dwordx4 v[35:38], v14, s[12:13] offset:208
	;; [unrolled: 1-line block ×3, first 2 shown]
	ds_read_b32 v21, v19
	ds_read_b32 v22, v20
	ds_read2_b32 v[14:15], v23 offset0:34 offset1:216
	ds_read2_b32 v[17:18], v25 offset0:14 offset1:196
	ds_read_b32 v24, v16
	s_waitcnt vmcnt(0) lgkmcnt(0)
	s_barrier
	buffer_gl0_inv
	v_mul_f32_e32 v0, v21, v11
	v_mul_f32_e32 v5, v31, v11
	;; [unrolled: 1-line block ×12, first 2 shown]
	v_fma_f32 v0, v31, v10, -v0
	v_fmac_f32_e32 v5, v21, v10
	v_fma_f32 v10, v29, v12, -v11
	v_fma_f32 v7, v7, v41, -v43
	;; [unrolled: 1-line block ×3, first 2 shown]
	v_fmac_f32_e32 v13, v22, v12
	v_fma_f32 v8, v8, v35, -v27
	v_fmac_f32_e32 v30, v14, v35
	v_fma_f32 v9, v9, v37, -v32
	v_fmac_f32_e32 v42, v18, v41
	v_fmac_f32_e32 v36, v15, v37
	;; [unrolled: 1-line block ×3, first 2 shown]
	v_add_f32_e32 v11, v0, v7
	v_sub_f32_e32 v0, v0, v7
	v_add_f32_e32 v7, v10, v6
	v_add_f32_e32 v12, v5, v42
	v_sub_f32_e32 v5, v5, v42
	v_add_f32_e32 v14, v13, v40
	v_sub_f32_e32 v6, v10, v6
	v_sub_f32_e32 v10, v13, v40
	v_add_f32_e32 v13, v8, v9
	v_add_f32_e32 v15, v30, v36
	v_sub_f32_e32 v8, v9, v8
	v_sub_f32_e32 v9, v36, v30
	v_add_f32_e32 v17, v7, v11
	v_add_f32_e32 v18, v14, v12
	v_sub_f32_e32 v21, v7, v11
	v_sub_f32_e32 v22, v14, v12
	;; [unrolled: 1-line block ×6, first 2 shown]
	v_add_f32_e32 v27, v8, v6
	v_add_f32_e32 v29, v9, v10
	v_sub_f32_e32 v30, v8, v6
	v_sub_f32_e32 v31, v9, v10
	;; [unrolled: 1-line block ×4, first 2 shown]
	v_add_f32_e32 v13, v13, v17
	v_sub_f32_e32 v8, v0, v8
	v_sub_f32_e32 v9, v5, v9
	v_add_f32_e32 v15, v15, v18
	v_add_f32_e32 v17, v27, v0
	;; [unrolled: 1-line block ×3, first 2 shown]
	v_mul_f32_e32 v5, 0x3f4a47b2, v11
	v_mul_f32_e32 v11, 0x3f4a47b2, v12
	;; [unrolled: 1-line block ×8, first 2 shown]
	v_add_f32_e32 v28, v28, v13
	v_fmamk_f32 v7, v7, 0x3d64c772, v5
	v_fmamk_f32 v14, v14, 0x3d64c772, v11
	v_fma_f32 v12, 0x3f3bfb3b, v21, -v12
	v_fma_f32 v18, 0x3f3bfb3b, v22, -v18
	;; [unrolled: 1-line block ×4, first 2 shown]
	v_fmamk_f32 v21, v8, 0x3eae86e6, v27
	v_fmamk_f32 v22, v9, 0x3eae86e6, v29
	v_fma_f32 v27, 0x3f5ff5aa, v6, -v27
	v_fma_f32 v6, 0x3f5ff5aa, v10, -v29
	;; [unrolled: 1-line block ×4, first 2 shown]
	v_fmamk_f32 v9, v13, 0xbf955555, v28
	v_add_f32_e32 v24, v24, v15
	v_fmac_f32_e32 v22, 0x3ee1c552, v0
	v_fmac_f32_e32 v6, 0x3ee1c552, v0
	;; [unrolled: 1-line block ×3, first 2 shown]
	v_add_f32_e32 v0, v7, v9
	v_fmamk_f32 v10, v15, 0xbf955555, v24
	v_add_f32_e32 v5, v5, v9
	v_add_f32_e32 v7, v12, v9
	v_fmac_f32_e32 v21, 0x3ee1c552, v17
	v_add_f32_e32 v9, v22, v0
	v_add_f32_e32 v12, v14, v10
	;; [unrolled: 1-line block ×3, first 2 shown]
	v_sub_f32_e32 v15, v7, v6
	v_add_f32_e32 v6, v6, v7
	v_sub_f32_e32 v5, v5, v8
	v_sub_f32_e32 v0, v0, v22
	v_add_f32_e32 v13, v18, v10
	v_add_f32_e32 v11, v11, v10
	ds_write2_b32 v26, v28, v9 offset1:26
	ds_write2_b32 v26, v14, v15 offset0:52 offset1:78
	ds_write2_b32 v26, v6, v5 offset0:104 offset1:130
	ds_write_b32 v26, v0 offset:624
	s_waitcnt lgkmcnt(0)
	s_barrier
	buffer_gl0_inv
	ds_read_b32 v0, v16
	ds_read_b32 v10, v19
	;; [unrolled: 1-line block ×3, first 2 shown]
	ds_read2_b32 v[7:8], v23 offset0:34 offset1:216
	ds_read2_b32 v[5:6], v25 offset0:14 offset1:196
	v_fmac_f32_e32 v29, 0x3ee1c552, v17
	v_fmac_f32_e32 v27, 0x3ee1c552, v17
	v_sub_f32_e32 v14, v12, v21
	v_add_f32_e32 v12, v21, v12
	s_waitcnt lgkmcnt(0)
	v_sub_f32_e32 v15, v11, v29
	v_add_f32_e32 v17, v27, v13
	v_sub_f32_e32 v13, v13, v27
	v_add_f32_e32 v11, v29, v11
	s_barrier
	buffer_gl0_inv
	ds_write2_b32 v26, v24, v14 offset1:26
	ds_write2_b32 v26, v15, v17 offset0:52 offset1:78
	ds_write2_b32 v26, v13, v11 offset0:104 offset1:130
	ds_write_b32 v26, v12 offset:624
	s_waitcnt lgkmcnt(0)
	s_barrier
	buffer_gl0_inv
	s_and_saveexec_b32 s0, vcc_lo
	s_cbranch_execz .LBB0_29
; %bb.28:
	v_mul_u32_u24_e32 v11, 6, v33
	v_add_nc_u32_e32 v17, 0xe00, v16
	v_add_nc_u32_e32 v29, 0x800, v16
	;; [unrolled: 1-line block ×4, first 2 shown]
	v_lshlrev_b32_e32 v15, 3, v11
	v_mul_lo_u32 v33, s5, v3
	v_mul_lo_u32 v41, s4, v4
	v_mad_u64_u32 v[3:4], null, s4, v3, 0
	s_clause 0x2
	global_load_dwordx4 v[11:14], v15, s[12:13] offset:1440
	global_load_dwordx4 v[21:24], v15, s[12:13] offset:1472
	;; [unrolled: 1-line block ×3, first 2 shown]
	ds_read_b32 v49, v20
	ds_read_b32 v50, v19
	ds_read_b32 v51, v16
	ds_read2_b32 v[17:18], v17 offset0:14 offset1:196
	ds_read2_b32 v[19:20], v29 offset0:34 offset1:216
	v_add_nc_u32_e32 v45, 0x222, v34
	v_add_nc_u32_e32 v46, 0x2d8, v34
	v_mad_u64_u32 v[15:16], null, s2, v34, 0
	v_add_nc_u32_e32 v47, 0x38e, v34
	v_add_nc_u32_e32 v48, 0x444, v34
	v_mad_u64_u32 v[29:30], null, s2, v43, 0
	v_mad_u64_u32 v[31:32], null, s2, v44, 0
	;; [unrolled: 1-line block ×5, first 2 shown]
	v_add3_u32 v4, v4, v41, v33
	v_mad_u64_u32 v[41:42], null, s2, v48, 0
	s_waitcnt lgkmcnt(1)
	v_mad_u64_u32 v[33:34], null, s3, v34, v[16:17]
	v_mov_b32_e32 v16, v30
	v_mov_b32_e32 v30, v32
	v_mov_b32_e32 v32, v36
	v_mov_b32_e32 v34, v38
	v_mov_b32_e32 v36, v40
	v_mov_b32_e32 v38, v42
	v_mad_u64_u32 v[42:43], null, s3, v43, v[16:17]
	v_mad_u64_u32 v[43:44], null, s3, v44, v[30:31]
	v_mad_u64_u32 v[44:45], null, s3, v45, v[32:33]
	v_mad_u64_u32 v[45:46], null, s3, v46, v[34:35]
	v_mad_u64_u32 v[46:47], null, s3, v47, v[36:37]
	v_lshlrev_b64 v[3:4], 3, v[3:4]
	v_mad_u64_u32 v[47:48], null, s3, v48, v[38:39]
	v_lshlrev_b64 v[1:2], 3, v[1:2]
	v_mov_b32_e32 v16, v33
	v_mov_b32_e32 v30, v42
	v_add_co_u32 v3, vcc_lo, s10, v3
	v_add_co_ci_u32_e32 v4, vcc_lo, s11, v4, vcc_lo
	v_mov_b32_e32 v32, v43
	v_mov_b32_e32 v36, v44
	;; [unrolled: 1-line block ×4, first 2 shown]
	v_add_co_u32 v48, vcc_lo, v3, v1
	v_add_co_ci_u32_e32 v52, vcc_lo, v4, v2, vcc_lo
	v_lshlrev_b64 v[1:2], 3, v[15:16]
	v_mov_b32_e32 v40, v46
	v_lshlrev_b64 v[3:4], 3, v[29:30]
	v_lshlrev_b64 v[15:16], 3, v[31:32]
	;; [unrolled: 1-line block ×6, first 2 shown]
	v_add_co_u32 v1, vcc_lo, v48, v1
	v_add_co_ci_u32_e32 v2, vcc_lo, v52, v2, vcc_lo
	v_add_co_u32 v3, vcc_lo, v48, v3
	v_add_co_ci_u32_e32 v4, vcc_lo, v52, v4, vcc_lo
	;; [unrolled: 2-line block ×7, first 2 shown]
	s_waitcnt vmcnt(2)
	v_mul_f32_e32 v37, v50, v12
	s_waitcnt vmcnt(1)
	v_mul_f32_e32 v38, v18, v24
	v_mul_f32_e32 v41, v49, v14
	;; [unrolled: 1-line block ×7, first 2 shown]
	s_waitcnt vmcnt(0) lgkmcnt(0)
	v_mul_f32_e32 v39, v20, v28
	v_mul_f32_e32 v40, v19, v26
	;; [unrolled: 1-line block ×4, first 2 shown]
	v_fma_f32 v10, v10, v11, -v37
	v_fma_f32 v6, v6, v23, -v38
	v_fma_f32 v9, v9, v13, -v41
	v_fma_f32 v5, v5, v21, -v42
	v_fmac_f32_e32 v24, v23, v18
	v_fmac_f32_e32 v12, v11, v50
	;; [unrolled: 1-line block ×4, first 2 shown]
	v_fma_f32 v8, v8, v27, -v39
	v_fma_f32 v7, v7, v25, -v40
	v_fmac_f32_e32 v26, v25, v19
	v_fmac_f32_e32 v28, v27, v20
	v_sub_f32_e32 v11, v10, v6
	v_sub_f32_e32 v17, v9, v5
	v_add_f32_e32 v18, v12, v24
	v_add_f32_e32 v20, v14, v22
	;; [unrolled: 1-line block ×4, first 2 shown]
	v_sub_f32_e32 v13, v8, v7
	v_add_f32_e32 v19, v28, v26
	v_add_f32_e32 v7, v8, v7
	v_sub_f32_e32 v8, v12, v24
	v_sub_f32_e32 v9, v28, v26
	;; [unrolled: 1-line block ×3, first 2 shown]
	v_add_f32_e32 v23, v18, v20
	v_add_f32_e32 v26, v6, v5
	v_sub_f32_e32 v12, v11, v13
	v_sub_f32_e32 v14, v13, v17
	v_add_f32_e32 v13, v13, v17
	v_sub_f32_e32 v21, v18, v19
	v_sub_f32_e32 v22, v19, v20
	;; [unrolled: 1-line block ×6, first 2 shown]
	v_add_f32_e32 v9, v9, v10
	v_sub_f32_e32 v17, v17, v11
	v_add_f32_e32 v19, v19, v23
	v_add_f32_e32 v7, v7, v26
	v_sub_f32_e32 v10, v10, v8
	v_sub_f32_e32 v18, v20, v18
	;; [unrolled: 1-line block ×3, first 2 shown]
	v_mul_f32_e32 v14, 0xbf08b237, v14
	v_add_f32_e32 v11, v11, v13
	v_mul_f32_e32 v13, 0x3f4a47b2, v21
	v_mul_f32_e32 v22, 0x3d64c772, v22
	;; [unrolled: 1-line block ×5, first 2 shown]
	v_add_f32_e32 v8, v8, v9
	v_mul_f32_e32 v9, 0x3f5ff5aa, v17
	v_add_f32_e32 v6, v51, v19
	v_add_f32_e32 v5, v0, v7
	v_mul_f32_e32 v28, 0x3f5ff5aa, v10
	v_fmamk_f32 v37, v12, 0x3eae86e6, v14
	v_fmamk_f32 v21, v21, 0x3f4a47b2, v22
	v_fmamk_f32 v24, v24, 0x3f4a47b2, v25
	v_fmamk_f32 v38, v27, 0x3eae86e6, v26
	v_fma_f32 v9, 0xbeae86e6, v12, -v9
	v_fma_f32 v0, 0xbf3bfb3b, v18, -v13
	;; [unrolled: 1-line block ×5, first 2 shown]
	v_fmamk_f32 v18, v19, 0xbf955555, v6
	v_fmamk_f32 v7, v7, 0xbf955555, v5
	v_fma_f32 v23, 0xbeae86e6, v27, -v28
	v_fma_f32 v17, 0x3f5ff5aa, v10, -v26
	;; [unrolled: 1-line block ×3, first 2 shown]
	v_fmac_f32_e32 v37, 0x3ee1c552, v11
	v_fmac_f32_e32 v38, 0x3ee1c552, v8
	;; [unrolled: 1-line block ×3, first 2 shown]
	global_store_dwordx2 v[1:2], v[5:6], off
	v_add_f32_e32 v2, v21, v18
	v_add_f32_e32 v5, v24, v7
	;; [unrolled: 1-line block ×4, first 2 shown]
	v_fmac_f32_e32 v9, 0x3ee1c552, v11
	v_fmac_f32_e32 v23, 0x3ee1c552, v8
	v_add_f32_e32 v11, v0, v18
	v_fmac_f32_e32 v17, 0x3ee1c552, v8
	v_add_f32_e32 v7, v10, v7
	v_sub_f32_e32 v8, v12, v14
	v_add_f32_e32 v10, v14, v12
	v_sub_f32_e32 v14, v2, v37
	v_add_f32_e32 v13, v38, v5
	v_add_f32_e32 v6, v9, v11
	v_sub_f32_e32 v12, v11, v9
	v_add_f32_e32 v11, v23, v19
	v_sub_f32_e32 v9, v7, v17
	;; [unrolled: 2-line block ×3, first 2 shown]
	v_sub_f32_e32 v5, v19, v23
	v_add_f32_e32 v1, v37, v2
	global_store_dwordx2 v[3:4], v[13:14], off
	global_store_dwordx2 v[15:16], v[11:12], off
	;; [unrolled: 1-line block ×6, first 2 shown]
.LBB0_29:
	s_endpgm
	.section	.rodata,"a",@progbits
	.p2align	6, 0x0
	.amdhsa_kernel fft_rtc_fwd_len1274_factors_2_13_7_7_wgs_182_tpt_182_halfLds_sp_op_CI_CI_sbrr_dirReg
		.amdhsa_group_segment_fixed_size 0
		.amdhsa_private_segment_fixed_size 0
		.amdhsa_kernarg_size 104
		.amdhsa_user_sgpr_count 6
		.amdhsa_user_sgpr_private_segment_buffer 1
		.amdhsa_user_sgpr_dispatch_ptr 0
		.amdhsa_user_sgpr_queue_ptr 0
		.amdhsa_user_sgpr_kernarg_segment_ptr 1
		.amdhsa_user_sgpr_dispatch_id 0
		.amdhsa_user_sgpr_flat_scratch_init 0
		.amdhsa_user_sgpr_private_segment_size 0
		.amdhsa_wavefront_size32 1
		.amdhsa_uses_dynamic_stack 0
		.amdhsa_system_sgpr_private_segment_wavefront_offset 0
		.amdhsa_system_sgpr_workgroup_id_x 1
		.amdhsa_system_sgpr_workgroup_id_y 0
		.amdhsa_system_sgpr_workgroup_id_z 0
		.amdhsa_system_sgpr_workgroup_info 0
		.amdhsa_system_vgpr_workitem_id 0
		.amdhsa_next_free_vgpr 68
		.amdhsa_next_free_sgpr 31
		.amdhsa_reserve_vcc 1
		.amdhsa_reserve_flat_scratch 0
		.amdhsa_float_round_mode_32 0
		.amdhsa_float_round_mode_16_64 0
		.amdhsa_float_denorm_mode_32 3
		.amdhsa_float_denorm_mode_16_64 3
		.amdhsa_dx10_clamp 1
		.amdhsa_ieee_mode 1
		.amdhsa_fp16_overflow 0
		.amdhsa_workgroup_processor_mode 1
		.amdhsa_memory_ordered 1
		.amdhsa_forward_progress 0
		.amdhsa_shared_vgpr_count 0
		.amdhsa_exception_fp_ieee_invalid_op 0
		.amdhsa_exception_fp_denorm_src 0
		.amdhsa_exception_fp_ieee_div_zero 0
		.amdhsa_exception_fp_ieee_overflow 0
		.amdhsa_exception_fp_ieee_underflow 0
		.amdhsa_exception_fp_ieee_inexact 0
		.amdhsa_exception_int_div_zero 0
	.end_amdhsa_kernel
	.text
.Lfunc_end0:
	.size	fft_rtc_fwd_len1274_factors_2_13_7_7_wgs_182_tpt_182_halfLds_sp_op_CI_CI_sbrr_dirReg, .Lfunc_end0-fft_rtc_fwd_len1274_factors_2_13_7_7_wgs_182_tpt_182_halfLds_sp_op_CI_CI_sbrr_dirReg
                                        ; -- End function
	.section	.AMDGPU.csdata,"",@progbits
; Kernel info:
; codeLenInByte = 7940
; NumSgprs: 33
; NumVgprs: 68
; ScratchSize: 0
; MemoryBound: 0
; FloatMode: 240
; IeeeMode: 1
; LDSByteSize: 0 bytes/workgroup (compile time only)
; SGPRBlocks: 4
; VGPRBlocks: 8
; NumSGPRsForWavesPerEU: 33
; NumVGPRsForWavesPerEU: 68
; Occupancy: 12
; WaveLimiterHint : 1
; COMPUTE_PGM_RSRC2:SCRATCH_EN: 0
; COMPUTE_PGM_RSRC2:USER_SGPR: 6
; COMPUTE_PGM_RSRC2:TRAP_HANDLER: 0
; COMPUTE_PGM_RSRC2:TGID_X_EN: 1
; COMPUTE_PGM_RSRC2:TGID_Y_EN: 0
; COMPUTE_PGM_RSRC2:TGID_Z_EN: 0
; COMPUTE_PGM_RSRC2:TIDIG_COMP_CNT: 0
	.text
	.p2alignl 6, 3214868480
	.fill 48, 4, 3214868480
	.type	__hip_cuid_1017ecc25427c33c,@object ; @__hip_cuid_1017ecc25427c33c
	.section	.bss,"aw",@nobits
	.globl	__hip_cuid_1017ecc25427c33c
__hip_cuid_1017ecc25427c33c:
	.byte	0                               ; 0x0
	.size	__hip_cuid_1017ecc25427c33c, 1

	.ident	"AMD clang version 19.0.0git (https://github.com/RadeonOpenCompute/llvm-project roc-6.4.0 25133 c7fe45cf4b819c5991fe208aaa96edf142730f1d)"
	.section	".note.GNU-stack","",@progbits
	.addrsig
	.addrsig_sym __hip_cuid_1017ecc25427c33c
	.amdgpu_metadata
---
amdhsa.kernels:
  - .args:
      - .actual_access:  read_only
        .address_space:  global
        .offset:         0
        .size:           8
        .value_kind:     global_buffer
      - .offset:         8
        .size:           8
        .value_kind:     by_value
      - .actual_access:  read_only
        .address_space:  global
        .offset:         16
        .size:           8
        .value_kind:     global_buffer
      - .actual_access:  read_only
        .address_space:  global
        .offset:         24
        .size:           8
        .value_kind:     global_buffer
      - .actual_access:  read_only
        .address_space:  global
        .offset:         32
        .size:           8
        .value_kind:     global_buffer
      - .offset:         40
        .size:           8
        .value_kind:     by_value
      - .actual_access:  read_only
        .address_space:  global
        .offset:         48
        .size:           8
        .value_kind:     global_buffer
      - .actual_access:  read_only
        .address_space:  global
        .offset:         56
        .size:           8
        .value_kind:     global_buffer
      - .offset:         64
        .size:           4
        .value_kind:     by_value
      - .actual_access:  read_only
        .address_space:  global
        .offset:         72
        .size:           8
        .value_kind:     global_buffer
      - .actual_access:  read_only
        .address_space:  global
        .offset:         80
        .size:           8
        .value_kind:     global_buffer
      - .actual_access:  read_only
        .address_space:  global
        .offset:         88
        .size:           8
        .value_kind:     global_buffer
      - .actual_access:  write_only
        .address_space:  global
        .offset:         96
        .size:           8
        .value_kind:     global_buffer
    .group_segment_fixed_size: 0
    .kernarg_segment_align: 8
    .kernarg_segment_size: 104
    .language:       OpenCL C
    .language_version:
      - 2
      - 0
    .max_flat_workgroup_size: 182
    .name:           fft_rtc_fwd_len1274_factors_2_13_7_7_wgs_182_tpt_182_halfLds_sp_op_CI_CI_sbrr_dirReg
    .private_segment_fixed_size: 0
    .sgpr_count:     33
    .sgpr_spill_count: 0
    .symbol:         fft_rtc_fwd_len1274_factors_2_13_7_7_wgs_182_tpt_182_halfLds_sp_op_CI_CI_sbrr_dirReg.kd
    .uniform_work_group_size: 1
    .uses_dynamic_stack: false
    .vgpr_count:     68
    .vgpr_spill_count: 0
    .wavefront_size: 32
    .workgroup_processor_mode: 1
amdhsa.target:   amdgcn-amd-amdhsa--gfx1030
amdhsa.version:
  - 1
  - 2
...

	.end_amdgpu_metadata
